;; amdgpu-corpus repo=ROCm/rocFFT kind=compiled arch=gfx906 opt=O3
	.text
	.amdgcn_target "amdgcn-amd-amdhsa--gfx906"
	.amdhsa_code_object_version 6
	.protected	fft_rtc_fwd_len800_factors_16_5_10_wgs_160_tpt_160_halfLds_sp_op_CI_CI_sbrr_dirReg ; -- Begin function fft_rtc_fwd_len800_factors_16_5_10_wgs_160_tpt_160_halfLds_sp_op_CI_CI_sbrr_dirReg
	.globl	fft_rtc_fwd_len800_factors_16_5_10_wgs_160_tpt_160_halfLds_sp_op_CI_CI_sbrr_dirReg
	.p2align	8
	.type	fft_rtc_fwd_len800_factors_16_5_10_wgs_160_tpt_160_halfLds_sp_op_CI_CI_sbrr_dirReg,@function
fft_rtc_fwd_len800_factors_16_5_10_wgs_160_tpt_160_halfLds_sp_op_CI_CI_sbrr_dirReg: ; @fft_rtc_fwd_len800_factors_16_5_10_wgs_160_tpt_160_halfLds_sp_op_CI_CI_sbrr_dirReg
; %bb.0:
	s_load_dwordx4 s[16:19], s[4:5], 0x18
	s_load_dwordx4 s[12:15], s[4:5], 0x0
	;; [unrolled: 1-line block ×3, first 2 shown]
	v_mul_u32_u24_e32 v1, 0x19a, v0
	v_mov_b32_e32 v7, 0
	s_waitcnt lgkmcnt(0)
	s_load_dwordx2 s[22:23], s[16:17], 0x0
	s_load_dwordx2 s[20:21], s[18:19], 0x0
	v_cmp_lt_u64_e64 s[0:1], s[14:15], 2
	v_mov_b32_e32 v5, 0
	v_add_u32_sdwa v9, s6, v1 dst_sel:DWORD dst_unused:UNUSED_PAD src0_sel:DWORD src1_sel:WORD_1
	v_mov_b32_e32 v10, v7
	s_and_b64 vcc, exec, s[0:1]
	v_mov_b32_e32 v6, 0
	s_cbranch_vccnz .LBB0_8
; %bb.1:
	s_load_dwordx2 s[0:1], s[4:5], 0x10
	s_add_u32 s2, s18, 8
	s_addc_u32 s3, s19, 0
	s_add_u32 s6, s16, 8
	s_addc_u32 s7, s17, 0
	v_mov_b32_e32 v5, 0
	s_waitcnt lgkmcnt(0)
	s_add_u32 s24, s0, 8
	v_mov_b32_e32 v6, 0
	v_mov_b32_e32 v1, v5
	s_addc_u32 s25, s1, 0
	s_mov_b64 s[26:27], 1
	v_mov_b32_e32 v2, v6
.LBB0_2:                                ; =>This Inner Loop Header: Depth=1
	s_load_dwordx2 s[28:29], s[24:25], 0x0
                                        ; implicit-def: $vgpr3_vgpr4
	s_waitcnt lgkmcnt(0)
	v_or_b32_e32 v8, s29, v10
	v_cmp_ne_u64_e32 vcc, 0, v[7:8]
	s_and_saveexec_b64 s[0:1], vcc
	s_xor_b64 s[30:31], exec, s[0:1]
	s_cbranch_execz .LBB0_4
; %bb.3:                                ;   in Loop: Header=BB0_2 Depth=1
	v_cvt_f32_u32_e32 v3, s28
	v_cvt_f32_u32_e32 v4, s29
	s_sub_u32 s0, 0, s28
	s_subb_u32 s1, 0, s29
	v_mac_f32_e32 v3, 0x4f800000, v4
	v_rcp_f32_e32 v3, v3
	v_mul_f32_e32 v3, 0x5f7ffffc, v3
	v_mul_f32_e32 v4, 0x2f800000, v3
	v_trunc_f32_e32 v4, v4
	v_mac_f32_e32 v3, 0xcf800000, v4
	v_cvt_u32_f32_e32 v4, v4
	v_cvt_u32_f32_e32 v3, v3
	v_mul_lo_u32 v8, s0, v4
	v_mul_hi_u32 v11, s0, v3
	v_mul_lo_u32 v13, s1, v3
	v_mul_lo_u32 v12, s0, v3
	v_add_u32_e32 v8, v11, v8
	v_add_u32_e32 v8, v8, v13
	v_mul_hi_u32 v11, v3, v12
	v_mul_lo_u32 v13, v3, v8
	v_mul_hi_u32 v15, v3, v8
	v_mul_hi_u32 v14, v4, v12
	v_mul_lo_u32 v12, v4, v12
	v_mul_hi_u32 v16, v4, v8
	v_add_co_u32_e32 v11, vcc, v11, v13
	v_addc_co_u32_e32 v13, vcc, 0, v15, vcc
	v_mul_lo_u32 v8, v4, v8
	v_add_co_u32_e32 v11, vcc, v11, v12
	v_addc_co_u32_e32 v11, vcc, v13, v14, vcc
	v_addc_co_u32_e32 v12, vcc, 0, v16, vcc
	v_add_co_u32_e32 v8, vcc, v11, v8
	v_addc_co_u32_e32 v11, vcc, 0, v12, vcc
	v_add_co_u32_e32 v3, vcc, v3, v8
	v_addc_co_u32_e32 v4, vcc, v4, v11, vcc
	v_mul_lo_u32 v8, s0, v4
	v_mul_hi_u32 v11, s0, v3
	v_mul_lo_u32 v12, s1, v3
	v_mul_lo_u32 v13, s0, v3
	v_add_u32_e32 v8, v11, v8
	v_add_u32_e32 v8, v8, v12
	v_mul_lo_u32 v14, v3, v8
	v_mul_hi_u32 v15, v3, v13
	v_mul_hi_u32 v16, v3, v8
	;; [unrolled: 1-line block ×3, first 2 shown]
	v_mul_lo_u32 v13, v4, v13
	v_mul_hi_u32 v11, v4, v8
	v_add_co_u32_e32 v14, vcc, v15, v14
	v_addc_co_u32_e32 v15, vcc, 0, v16, vcc
	v_mul_lo_u32 v8, v4, v8
	v_add_co_u32_e32 v13, vcc, v14, v13
	v_addc_co_u32_e32 v12, vcc, v15, v12, vcc
	v_addc_co_u32_e32 v11, vcc, 0, v11, vcc
	v_add_co_u32_e32 v8, vcc, v12, v8
	v_addc_co_u32_e32 v11, vcc, 0, v11, vcc
	v_add_co_u32_e32 v8, vcc, v3, v8
	v_addc_co_u32_e32 v11, vcc, v4, v11, vcc
	v_mad_u64_u32 v[3:4], s[0:1], v9, v11, 0
	v_mul_hi_u32 v12, v9, v8
	v_add_co_u32_e32 v13, vcc, v12, v3
	v_addc_co_u32_e32 v14, vcc, 0, v4, vcc
	v_mad_u64_u32 v[3:4], s[0:1], v10, v8, 0
	v_mad_u64_u32 v[11:12], s[0:1], v10, v11, 0
	v_add_co_u32_e32 v3, vcc, v13, v3
	v_addc_co_u32_e32 v3, vcc, v14, v4, vcc
	v_addc_co_u32_e32 v4, vcc, 0, v12, vcc
	v_add_co_u32_e32 v8, vcc, v3, v11
	v_addc_co_u32_e32 v11, vcc, 0, v4, vcc
	v_mul_lo_u32 v12, s29, v8
	v_mul_lo_u32 v13, s28, v11
	v_mad_u64_u32 v[3:4], s[0:1], s28, v8, 0
	v_add3_u32 v4, v4, v13, v12
	v_sub_u32_e32 v12, v10, v4
	v_mov_b32_e32 v13, s29
	v_sub_co_u32_e32 v3, vcc, v9, v3
	v_subb_co_u32_e64 v12, s[0:1], v12, v13, vcc
	v_subrev_co_u32_e64 v13, s[0:1], s28, v3
	v_subbrev_co_u32_e64 v12, s[0:1], 0, v12, s[0:1]
	v_cmp_le_u32_e64 s[0:1], s29, v12
	v_cndmask_b32_e64 v14, 0, -1, s[0:1]
	v_cmp_le_u32_e64 s[0:1], s28, v13
	v_cndmask_b32_e64 v13, 0, -1, s[0:1]
	v_cmp_eq_u32_e64 s[0:1], s29, v12
	v_cndmask_b32_e64 v12, v14, v13, s[0:1]
	v_add_co_u32_e64 v13, s[0:1], 2, v8
	v_addc_co_u32_e64 v14, s[0:1], 0, v11, s[0:1]
	v_add_co_u32_e64 v15, s[0:1], 1, v8
	v_addc_co_u32_e64 v16, s[0:1], 0, v11, s[0:1]
	v_subb_co_u32_e32 v4, vcc, v10, v4, vcc
	v_cmp_ne_u32_e64 s[0:1], 0, v12
	v_cmp_le_u32_e32 vcc, s29, v4
	v_cndmask_b32_e64 v12, v16, v14, s[0:1]
	v_cndmask_b32_e64 v14, 0, -1, vcc
	v_cmp_le_u32_e32 vcc, s28, v3
	v_cndmask_b32_e64 v3, 0, -1, vcc
	v_cmp_eq_u32_e32 vcc, s29, v4
	v_cndmask_b32_e32 v3, v14, v3, vcc
	v_cmp_ne_u32_e32 vcc, 0, v3
	v_cndmask_b32_e64 v3, v15, v13, s[0:1]
	v_cndmask_b32_e32 v4, v11, v12, vcc
	v_cndmask_b32_e32 v3, v8, v3, vcc
.LBB0_4:                                ;   in Loop: Header=BB0_2 Depth=1
	s_andn2_saveexec_b64 s[0:1], s[30:31]
	s_cbranch_execz .LBB0_6
; %bb.5:                                ;   in Loop: Header=BB0_2 Depth=1
	v_cvt_f32_u32_e32 v3, s28
	s_sub_i32 s30, 0, s28
	v_rcp_iflag_f32_e32 v3, v3
	v_mul_f32_e32 v3, 0x4f7ffffe, v3
	v_cvt_u32_f32_e32 v3, v3
	v_mul_lo_u32 v4, s30, v3
	v_mul_hi_u32 v4, v3, v4
	v_add_u32_e32 v3, v3, v4
	v_mul_hi_u32 v3, v9, v3
	v_mul_lo_u32 v4, v3, s28
	v_add_u32_e32 v8, 1, v3
	v_sub_u32_e32 v4, v9, v4
	v_subrev_u32_e32 v11, s28, v4
	v_cmp_le_u32_e32 vcc, s28, v4
	v_cndmask_b32_e32 v4, v4, v11, vcc
	v_cndmask_b32_e32 v3, v3, v8, vcc
	v_add_u32_e32 v8, 1, v3
	v_cmp_le_u32_e32 vcc, s28, v4
	v_cndmask_b32_e32 v3, v3, v8, vcc
	v_mov_b32_e32 v4, v7
.LBB0_6:                                ;   in Loop: Header=BB0_2 Depth=1
	s_or_b64 exec, exec, s[0:1]
	v_mul_lo_u32 v8, v4, s28
	v_mul_lo_u32 v13, v3, s29
	v_mad_u64_u32 v[11:12], s[0:1], v3, s28, 0
	s_load_dwordx2 s[0:1], s[6:7], 0x0
	s_load_dwordx2 s[28:29], s[2:3], 0x0
	v_add3_u32 v8, v12, v13, v8
	v_sub_co_u32_e32 v9, vcc, v9, v11
	v_subb_co_u32_e32 v8, vcc, v10, v8, vcc
	s_waitcnt lgkmcnt(0)
	v_mul_lo_u32 v10, s0, v8
	v_mul_lo_u32 v11, s1, v9
	v_mad_u64_u32 v[5:6], s[0:1], s0, v9, v[5:6]
	v_mul_lo_u32 v8, s28, v8
	v_mul_lo_u32 v12, s29, v9
	v_mad_u64_u32 v[1:2], s[0:1], s28, v9, v[1:2]
	s_add_u32 s26, s26, 1
	s_addc_u32 s27, s27, 0
	s_add_u32 s2, s2, 8
	v_add3_u32 v2, v12, v2, v8
	s_addc_u32 s3, s3, 0
	v_mov_b32_e32 v8, s14
	s_add_u32 s6, s6, 8
	v_mov_b32_e32 v9, s15
	s_addc_u32 s7, s7, 0
	v_cmp_ge_u64_e32 vcc, s[26:27], v[8:9]
	s_add_u32 s24, s24, 8
	v_add3_u32 v6, v11, v6, v10
	s_addc_u32 s25, s25, 0
	s_cbranch_vccnz .LBB0_9
; %bb.7:                                ;   in Loop: Header=BB0_2 Depth=1
	v_mov_b32_e32 v10, v4
	v_mov_b32_e32 v9, v3
	s_branch .LBB0_2
.LBB0_8:
	v_mov_b32_e32 v1, v5
	v_mov_b32_e32 v3, v9
	;; [unrolled: 1-line block ×4, first 2 shown]
.LBB0_9:
	s_load_dwordx2 s[0:1], s[4:5], 0x28
	s_mov_b32 s4, 0x199999a
	v_mul_hi_u32 v7, v0, s4
	s_lshl_b64 s[2:3], s[14:15], 3
	s_add_u32 s4, s18, s2
	s_waitcnt lgkmcnt(0)
	v_cmp_gt_u64_e32 vcc, s[0:1], v[3:4]
	v_mul_u32_u24_e32 v7, 0xa0, v7
	v_sub_u32_e32 v0, v0, v7
	v_cmp_gt_u32_e64 s[0:1], 50, v0
	s_addc_u32 s5, s19, s3
	s_and_b64 s[14:15], vcc, s[0:1]
	v_mov_b32_e32 v11, 0
	v_mov_b32_e32 v10, 0
	v_mov_b32_e32 v17, 0
	v_mov_b32_e32 v16, 0
	v_mov_b32_e32 v23, 0
	v_mov_b32_e32 v22, 0
	v_mov_b32_e32 v8, 0
	v_mov_b32_e32 v7, 0
	v_mov_b32_e32 v13, 0
	v_mov_b32_e32 v12, 0
	v_mov_b32_e32 v21, 0
	v_mov_b32_e32 v20, 0
	v_mov_b32_e32 v25, 0
	v_mov_b32_e32 v24, 0
	v_mov_b32_e32 v19, 0
	v_mov_b32_e32 v18, 0
                                        ; implicit-def: $vgpr15
                                        ; implicit-def: $vgpr29
                                        ; implicit-def: $vgpr31
                                        ; implicit-def: $vgpr27
                                        ; implicit-def: $vgpr33
                                        ; implicit-def: $vgpr35
                                        ; implicit-def: $vgpr39
                                        ; implicit-def: $vgpr37
	s_and_saveexec_b64 s[6:7], s[14:15]
	s_cbranch_execz .LBB0_11
; %bb.10:
	s_add_u32 s2, s16, s2
	s_addc_u32 s3, s17, s3
	s_load_dwordx2 s[2:3], s[2:3], 0x0
	v_mad_u64_u32 v[7:8], s[14:15], s22, v0, 0
	v_lshlrev_b64 v[5:6], 3, v[5:6]
	s_waitcnt lgkmcnt(0)
	v_mul_lo_u32 v13, s3, v3
	v_mul_lo_u32 v14, s2, v4
	v_mad_u64_u32 v[9:10], s[2:3], s2, v3, 0
	v_mad_u64_u32 v[11:12], s[2:3], s23, v0, v[8:9]
	v_add3_u32 v10, v10, v14, v13
	v_lshlrev_b64 v[9:10], 3, v[9:10]
	v_mov_b32_e32 v8, v11
	v_mov_b32_e32 v11, s9
	v_add_co_u32_e64 v12, s[2:3], s8, v9
	v_add_u32_e32 v13, 50, v0
	v_addc_co_u32_e64 v11, s[2:3], v11, v10, s[2:3]
	v_mad_u64_u32 v[9:10], s[2:3], s22, v13, 0
	v_add_co_u32_e64 v15, s[2:3], v12, v5
	v_addc_co_u32_e64 v16, s[2:3], v11, v6, s[2:3]
	v_lshlrev_b64 v[5:6], 3, v[7:8]
	v_mov_b32_e32 v7, v10
	v_mad_u64_u32 v[7:8], s[2:3], s23, v13, v[7:8]
	v_add_u32_e32 v13, 0x64, v0
	v_mad_u64_u32 v[11:12], s[2:3], s22, v13, 0
	v_mov_b32_e32 v10, v7
	v_add_co_u32_e64 v5, s[2:3], v15, v5
	v_lshlrev_b64 v[7:8], 3, v[9:10]
	v_mov_b32_e32 v9, v12
	v_addc_co_u32_e64 v6, s[2:3], v16, v6, s[2:3]
	v_mad_u64_u32 v[9:10], s[2:3], s23, v13, v[9:10]
	v_add_u32_e32 v10, 0x96, v0
	v_mad_u64_u32 v[13:14], s[2:3], s22, v10, 0
	v_add_co_u32_e64 v34, s[2:3], v15, v7
	v_mov_b32_e32 v12, v9
	v_mov_b32_e32 v9, v14
	v_addc_co_u32_e64 v35, s[2:3], v16, v8, s[2:3]
	v_lshlrev_b64 v[7:8], 3, v[11:12]
	v_mad_u64_u32 v[9:10], s[2:3], s23, v10, v[9:10]
	v_add_u32_e32 v12, 0xc8, v0
	v_mad_u64_u32 v[10:11], s[2:3], s22, v12, 0
	v_add_co_u32_e64 v36, s[2:3], v15, v7
	v_mov_b32_e32 v14, v9
	v_mov_b32_e32 v9, v11
	v_addc_co_u32_e64 v37, s[2:3], v16, v8, s[2:3]
	v_lshlrev_b64 v[7:8], 3, v[13:14]
	v_mad_u64_u32 v[11:12], s[2:3], s23, v12, v[9:10]
	v_add_u32_e32 v14, 0xfa, v0
	v_mad_u64_u32 v[12:13], s[2:3], s22, v14, 0
	v_add_co_u32_e64 v38, s[2:3], v15, v7
	v_mov_b32_e32 v9, v13
	v_addc_co_u32_e64 v39, s[2:3], v16, v8, s[2:3]
	v_lshlrev_b64 v[7:8], 3, v[10:11]
	v_mad_u64_u32 v[9:10], s[2:3], s23, v14, v[9:10]
	v_add_u32_e32 v14, 0x12c, v0
	v_mad_u64_u32 v[10:11], s[2:3], s22, v14, 0
	v_add_co_u32_e64 v40, s[2:3], v15, v7
	v_mov_b32_e32 v13, v9
	v_mov_b32_e32 v9, v11
	v_addc_co_u32_e64 v41, s[2:3], v16, v8, s[2:3]
	v_lshlrev_b64 v[7:8], 3, v[12:13]
	v_mad_u64_u32 v[11:12], s[2:3], s23, v14, v[9:10]
	v_add_u32_e32 v14, 0x15e, v0
	v_mad_u64_u32 v[12:13], s[2:3], s22, v14, 0
	v_add_co_u32_e64 v42, s[2:3], v15, v7
	;; [unrolled: 15-line block ×6, first 2 shown]
	v_mov_b32_e32 v9, v13
	v_addc_co_u32_e64 v59, s[2:3], v16, v8, s[2:3]
	v_lshlrev_b64 v[7:8], 3, v[10:11]
	v_mad_u64_u32 v[9:10], s[2:3], s23, v14, v[9:10]
	v_add_co_u32_e64 v60, s[2:3], v15, v7
	v_mov_b32_e32 v13, v9
	v_addc_co_u32_e64 v61, s[2:3], v16, v8, s[2:3]
	v_lshlrev_b64 v[7:8], 3, v[12:13]
	v_add_co_u32_e64 v62, s[2:3], v15, v7
	v_addc_co_u32_e64 v63, s[2:3], v16, v8, s[2:3]
	global_load_dwordx2 v[10:11], v[5:6], off
	global_load_dwordx2 v[16:17], v[34:35], off
	;; [unrolled: 1-line block ×13, first 2 shown]
                                        ; kill: killed $vgpr50 killed $vgpr51
                                        ; kill: killed $vgpr40 killed $vgpr41
                                        ; kill: killed $vgpr54 killed $vgpr55
                                        ; kill: killed $vgpr44 killed $vgpr45
                                        ; kill: killed $vgpr34 killed $vgpr35
                                        ; kill: killed $vgpr48 killed $vgpr49
                                        ; kill: killed $vgpr38 killed $vgpr39
                                        ; kill: killed $vgpr52 killed $vgpr53
                                        ; kill: killed $vgpr42 killed $vgpr43
                                        ; kill: killed $vgpr5 killed $vgpr6
                                        ; kill: killed $vgpr56 killed $vgpr57
                                        ; kill: killed $vgpr46 killed $vgpr47
                                        ; kill: killed $vgpr36 killed $vgpr37
	global_load_dwordx2 v[34:35], v[58:59], off
	global_load_dwordx2 v[38:39], v[60:61], off
	global_load_dwordx2 v[36:37], v[62:63], off
.LBB0_11:
	s_or_b64 exec, exec, s[6:7]
	s_waitcnt vmcnt(7)
	v_sub_f32_e32 v5, v10, v14
	v_fma_f32 v6, v10, 2.0, -v5
	s_waitcnt vmcnt(3)
	v_sub_f32_e32 v14, v12, v32
	v_sub_f32_e32 v10, v22, v30
	;; [unrolled: 1-line block ×4, first 2 shown]
	v_fma_f32 v9, v12, 2.0, -v14
	v_fma_f32 v12, v23, 2.0, -v30
	s_waitcnt vmcnt(1)
	v_sub_f32_e32 v23, v24, v38
	v_sub_f32_e32 v33, v25, v39
	v_fma_f32 v31, v22, 2.0, -v10
	v_fma_f32 v22, v24, 2.0, -v23
	;; [unrolled: 1-line block ×3, first 2 shown]
	v_sub_f32_e32 v25, v16, v28
	v_sub_f32_e32 v28, v17, v29
	;; [unrolled: 1-line block ×5, first 2 shown]
	s_waitcnt vmcnt(0)
	v_sub_f32_e32 v38, v19, v37
	v_fma_f32 v17, v17, 2.0, -v28
	v_fma_f32 v21, v21, 2.0, -v34
	;; [unrolled: 1-line block ×4, first 2 shown]
	v_sub_f32_e32 v41, v5, v32
	v_fma_f32 v16, v16, 2.0, -v25
	v_fma_f32 v35, v20, 2.0, -v29
	;; [unrolled: 1-line block ×3, first 2 shown]
	v_sub_f32_e32 v39, v10, v33
	v_sub_f32_e32 v43, v17, v21
	;; [unrolled: 1-line block ×5, first 2 shown]
	v_add_f32_e32 v40, v30, v23
	v_fma_f32 v10, v10, 2.0, -v39
	v_sub_f32_e32 v35, v16, v35
	v_fma_f32 v23, v17, 2.0, -v43
	v_sub_f32_e32 v17, v25, v34
	v_add_f32_e32 v29, v28, v29
	v_fma_f32 v8, v8, 2.0, -v19
	v_mov_b32_e32 v49, v5
	v_fma_f32 v18, v18, 2.0, -v36
	v_fma_f32 v30, v30, 2.0, -v40
	;; [unrolled: 1-line block ×4, first 2 shown]
	v_sub_f32_e32 v45, v26, v38
	v_add_f32_e32 v48, v27, v36
	v_fmac_f32_e32 v49, 0xbf3504f3, v10
	v_sub_f32_e32 v36, v23, v8
	v_sub_f32_e32 v8, v35, v19
	v_fma_f32 v7, v7, 2.0, -v26
	v_sub_f32_e32 v20, v31, v22
	v_sub_f32_e32 v22, v12, v24
	v_fma_f32 v16, v16, 2.0, -v35
	v_fma_f32 v38, v26, 2.0, -v45
	;; [unrolled: 1-line block ×3, first 2 shown]
	v_mul_f32_e32 v24, 0x3f3504f3, v10
	v_mul_f32_e32 v26, 0x3f3504f3, v30
	v_fmac_f32_e32 v49, 0xbf3504f3, v30
	v_mov_b32_e32 v47, v41
	v_mov_b32_e32 v30, v25
	;; [unrolled: 1-line block ×3, first 2 shown]
	v_fma_f32 v10, v35, 2.0, -v8
	v_mov_b32_e32 v35, v17
	v_sub_f32_e32 v37, v6, v9
	v_fmac_f32_e32 v47, 0x3f3504f3, v39
	v_fmac_f32_e32 v30, 0xbf3504f3, v38
	;; [unrolled: 1-line block ×4, first 2 shown]
	v_fma_f32 v6, v6, 2.0, -v37
	v_fma_f32 v9, v31, 2.0, -v20
	v_sub_f32_e32 v18, v7, v18
	v_sub_f32_e32 v46, v37, v22
	v_fmac_f32_e32 v47, 0xbf3504f3, v40
	v_fmac_f32_e32 v30, 0xbf3504f3, v27
	;; [unrolled: 1-line block ×3, first 2 shown]
	v_mov_b32_e32 v38, v29
	v_fmac_f32_e32 v35, 0xbf3504f3, v48
	v_fma_f32 v21, v7, 2.0, -v18
	v_sub_f32_e32 v7, v6, v9
	v_fma_f32 v44, v5, 2.0, -v49
	v_mul_f32_e32 v31, 0x3f3504f3, v39
	v_fma_f32 v39, v25, 2.0, -v30
	v_add_f32_e32 v9, v43, v18
	v_fmac_f32_e32 v38, 0x3f3504f3, v48
	v_fma_f32 v25, v17, 2.0, -v35
	v_mov_b32_e32 v17, v49
	v_mov_b32_e32 v18, v46
	;; [unrolled: 1-line block ×3, first 2 shown]
	v_fma_f32 v42, v6, 2.0, -v7
	v_sub_f32_e32 v21, v16, v21
	v_fmac_f32_e32 v38, 0x3f3504f3, v45
	v_mov_b32_e32 v6, v44
	v_fmac_f32_e32 v17, 0x3ec3ef15, v30
	v_fmac_f32_e32 v18, 0x3f3504f3, v8
	;; [unrolled: 1-line block ×3, first 2 shown]
	v_mul_f32_e32 v33, 0x3f3504f3, v40
	v_fma_f32 v5, v16, 2.0, -v21
	v_fma_f32 v40, v28, 2.0, -v34
	;; [unrolled: 1-line block ×3, first 2 shown]
	v_fmac_f32_e32 v6, 0xbf6c835e, v39
	v_fmac_f32_e32 v17, 0xbf6c835e, v34
	;; [unrolled: 1-line block ×4, first 2 shown]
	v_fma_f32 v27, v29, 2.0, -v38
	v_sub_f32_e32 v5, v42, v5
	v_fmac_f32_e32 v6, 0xbec3ef15, v40
	v_mul_f32_e32 v28, 0x3f3504f3, v10
	v_mul_f32_e32 v29, 0x3f3504f3, v16
	;; [unrolled: 1-line block ×4, first 2 shown]
	v_fma_f32 v9, v46, 2.0, -v18
	v_fma_f32 v10, v47, 2.0, -v19
	v_fma_f32 v8, v49, 2.0, -v17
	s_and_saveexec_b64 s[2:3], s[0:1]
	s_cbranch_execz .LBB0_13
; %bb.12:
	v_fma_f32 v41, v41, 2.0, -v47
	v_mov_b32_e32 v47, v41
	v_fmac_f32_e32 v47, 0xbec3ef15, v25
	v_fmac_f32_e32 v47, 0xbf6c835e, v27
	v_fma_f32 v37, v37, 2.0, -v46
	v_fma_f32 v49, v41, 2.0, -v47
	v_sub_f32_e32 v41, v37, v28
	v_sub_f32_e32 v46, v41, v29
	;; [unrolled: 1-line block ×3, first 2 shown]
	v_fma_f32 v48, v37, 2.0, -v46
	v_fma_f32 v51, v44, 2.0, -v6
	;; [unrolled: 1-line block ×3, first 2 shown]
	v_lshl_add_u32 v37, v0, 6, 0
	v_fma_f32 v7, v7, 2.0, -v16
	ds_write2_b64 v37, v[50:51], v[48:49] offset1:1
	ds_write2_b64 v37, v[7:8], v[9:10] offset0:2 offset1:3
	ds_write2_b64 v37, v[5:6], v[46:47] offset0:4 offset1:5
	;; [unrolled: 1-line block ×3, first 2 shown]
.LBB0_13:
	s_or_b64 exec, exec, s[2:3]
	v_sub_f32_e32 v7, v11, v15
	v_fma_f32 v11, v11, 2.0, -v7
	v_fma_f32 v13, v13, 2.0, -v32
	v_sub_f32_e32 v32, v11, v13
	v_fma_f32 v11, v11, 2.0, -v32
	v_add_f32_e32 v37, v7, v14
	v_fma_f32 v12, v12, 2.0, -v22
	v_fma_f32 v7, v7, 2.0, -v37
	v_sub_f32_e32 v15, v11, v12
	v_fma_f32 v41, v11, 2.0, -v15
	v_sub_f32_e32 v11, v7, v26
	v_add_f32_e32 v11, v24, v11
	v_fma_f32 v42, v7, 2.0, -v11
	v_add_f32_e32 v7, v37, v33
	v_mov_b32_e32 v22, v11
	v_add_f32_e32 v44, v32, v20
	v_add_f32_e32 v31, v31, v7
	v_fma_f32 v7, v23, 2.0, -v36
	v_fmac_f32_e32 v22, 0x3ec3ef15, v34
	v_lshl_add_u32 v26, v0, 2, 0
	v_sub_f32_e32 v13, v41, v7
	v_fmac_f32_e32 v22, 0x3f6c835e, v30
	v_add_f32_e32 v7, v44, v45
	v_add_u32_e32 v30, 0x400, v26
	v_fma_f32 v16, v11, 2.0, -v22
	v_add_f32_e32 v23, v43, v7
	s_waitcnt lgkmcnt(0)
	s_barrier
	ds_read2_b32 v[19:20], v26 offset1:160
	ds_read2_b32 v[11:12], v30 offset0:64 offset1:224
	ds_read_b32 v7, v26 offset:2560
	v_mov_b32_e32 v24, v31
	v_mov_b32_e32 v14, v42
	v_fmac_f32_e32 v24, 0x3f6c835e, v38
	v_fmac_f32_e32 v14, 0xbf6c835e, v40
	;; [unrolled: 1-line block ×4, first 2 shown]
	v_fma_f32 v17, v44, 2.0, -v23
	v_fma_f32 v18, v31, 2.0, -v24
	s_waitcnt lgkmcnt(0)
	s_barrier
	s_and_saveexec_b64 s[2:3], s[0:1]
	s_cbranch_execz .LBB0_15
; %bb.14:
	v_fma_f32 v33, v32, 2.0, -v44
	v_fma_f32 v34, v37, 2.0, -v31
	v_sub_f32_e32 v29, v33, v29
	v_add_f32_e32 v28, v28, v29
	v_mov_b32_e32 v29, v34
	v_fmac_f32_e32 v29, 0xbec3ef15, v27
	v_fmac_f32_e32 v29, 0x3f6c835e, v25
	v_fma_f32 v31, v41, 2.0, -v13
	v_fma_f32 v32, v42, 2.0, -v14
	;; [unrolled: 1-line block ×4, first 2 shown]
	v_add_f32_e32 v21, v15, v21
	v_mad_u32_u24 v25, v0, 60, v26
	v_fma_f32 v15, v15, 2.0, -v21
	ds_write2_b64 v25, v[31:32], v[33:34] offset1:1
	ds_write2_b64 v25, v[15:16], v[17:18] offset0:2 offset1:3
	ds_write2_b64 v25, v[13:14], v[28:29] offset0:4 offset1:5
	ds_write2_b64 v25, v[21:22], v[23:24] offset0:6 offset1:7
.LBB0_15:
	s_or_b64 exec, exec, s[2:3]
	v_and_b32_e32 v15, 15, v0
	v_lshlrev_b32_e32 v21, 5, v15
	s_load_dwordx2 s[2:3], s[4:5], 0x0
	s_waitcnt lgkmcnt(0)
	s_barrier
	global_load_dwordx4 v[32:35], v21, s[12:13]
	global_load_dwordx4 v[36:39], v21, s[12:13] offset:16
	ds_read2_b32 v[21:22], v26 offset1:160
	ds_read2_b32 v[24:25], v30 offset0:64 offset1:224
	ds_read_b32 v40, v26 offset:2560
	v_lshrrev_b32_e32 v23, 4, v0
	v_mul_u32_u24_e32 v23, 0x50, v23
	v_or_b32_e32 v15, v23, v15
	v_lshl_add_u32 v27, v15, 2, 0
	s_movk_i32 s0, 0x50
	v_cmp_gt_u32_e64 s[0:1], s0, v0
	s_waitcnt vmcnt(0) lgkmcnt(0)
	s_barrier
	v_mul_f32_e32 v15, v22, v33
	v_mul_f32_e32 v28, v20, v33
	;; [unrolled: 1-line block ×7, first 2 shown]
	v_fma_f32 v23, v20, v32, -v15
	v_fmac_f32_e32 v28, v22, v32
	v_fma_f32 v20, v11, v34, -v33
	v_fma_f32 v32, v12, v36, -v35
	;; [unrolled: 1-line block ×3, first 2 shown]
	v_mul_f32_e32 v31, v7, v39
	v_fmac_f32_e32 v30, v25, v36
	v_add_f32_e32 v7, v19, v23
	v_add_f32_e32 v11, v20, v32
	;; [unrolled: 1-line block ×3, first 2 shown]
	v_fmac_f32_e32 v29, v24, v34
	v_fmac_f32_e32 v31, v40, v38
	v_sub_f32_e32 v12, v23, v20
	v_sub_f32_e32 v24, v33, v32
	v_add_f32_e32 v36, v7, v20
	v_fma_f32 v7, -0.5, v11, v19
	v_fmac_f32_e32 v19, -0.5, v25
	v_sub_f32_e32 v15, v28, v31
	v_sub_f32_e32 v22, v29, v30
	v_add_f32_e32 v37, v12, v24
	v_mov_b32_e32 v12, v7
	v_mov_b32_e32 v24, v19
	v_sub_f32_e32 v34, v20, v23
	v_sub_f32_e32 v35, v32, v33
	v_fmac_f32_e32 v7, 0xbf737871, v15
	v_fmac_f32_e32 v19, 0x3f737871, v22
	;; [unrolled: 1-line block ×4, first 2 shown]
	v_add_f32_e32 v25, v34, v35
	v_add_f32_e32 v11, v36, v32
	v_fmac_f32_e32 v7, 0xbf167918, v22
	v_fmac_f32_e32 v19, 0xbf167918, v15
	v_fmac_f32_e32 v12, 0x3f167918, v22
	v_fmac_f32_e32 v24, 0x3f167918, v15
	v_add_f32_e32 v11, v11, v33
	v_fmac_f32_e32 v7, 0x3e9e377a, v37
	v_fmac_f32_e32 v19, 0x3e9e377a, v25
	;; [unrolled: 1-line block ×4, first 2 shown]
	ds_write_b32 v27, v7 offset:256
	ds_write2_b32 v27, v11, v12 offset1:16
	ds_write2_b32 v27, v24, v19 offset0:32 offset1:48
	s_waitcnt lgkmcnt(0)
	s_barrier
	s_and_saveexec_b64 s[4:5], s[0:1]
	s_cbranch_execz .LBB0_17
; %bb.16:
	v_add_u32_e32 v5, 0x400, v26
	ds_read2_b32 v[11:12], v26 offset1:80
	ds_read2_b32 v[24:25], v26 offset0:160 offset1:240
	ds_read2_b32 v[7:8], v5 offset0:64 offset1:144
	v_add_u32_e32 v5, 0x600, v26
	ds_read2_b32 v[9:10], v5 offset0:96 offset1:176
	v_add_u32_e32 v5, 0x800, v26
	ds_read2_b32 v[5:6], v5 offset0:128 offset1:208
	s_waitcnt lgkmcnt(3)
	v_mov_b32_e32 v19, v25
.LBB0_17:
	s_or_b64 exec, exec, s[4:5]
	v_add_f32_e32 v15, v21, v28
	v_add_f32_e32 v15, v15, v29
	;; [unrolled: 1-line block ×5, first 2 shown]
	v_fma_f32 v15, -0.5, v15, v21
	v_sub_f32_e32 v25, v23, v33
	v_mov_b32_e32 v23, v15
	v_fmac_f32_e32 v23, 0xbf737871, v25
	v_sub_f32_e32 v32, v20, v32
	v_sub_f32_e32 v20, v28, v29
	;; [unrolled: 1-line block ×3, first 2 shown]
	v_fmac_f32_e32 v15, 0x3f737871, v25
	v_fmac_f32_e32 v23, 0xbf167918, v32
	v_add_f32_e32 v20, v20, v33
	v_fmac_f32_e32 v15, 0x3f167918, v32
	v_fmac_f32_e32 v23, 0x3e9e377a, v20
	;; [unrolled: 1-line block ×3, first 2 shown]
	v_add_f32_e32 v20, v28, v31
	v_fmac_f32_e32 v21, -0.5, v20
	v_mov_b32_e32 v20, v21
	v_fmac_f32_e32 v20, 0x3f737871, v32
	v_sub_f32_e32 v28, v29, v28
	v_sub_f32_e32 v29, v30, v31
	v_fmac_f32_e32 v21, 0xbf737871, v32
	v_fmac_f32_e32 v20, 0xbf167918, v25
	v_add_f32_e32 v28, v28, v29
	v_fmac_f32_e32 v21, 0x3f167918, v25
	v_fmac_f32_e32 v20, 0x3e9e377a, v28
	;; [unrolled: 1-line block ×3, first 2 shown]
	s_waitcnt lgkmcnt(0)
	s_barrier
	ds_write2_b32 v27, v22, v23 offset1:16
	ds_write2_b32 v27, v20, v21 offset0:32 offset1:48
	ds_write_b32 v27, v15 offset:256
	s_waitcnt lgkmcnt(0)
	s_barrier
	s_and_saveexec_b64 s[4:5], s[0:1]
	s_cbranch_execnz .LBB0_20
; %bb.18:
	s_or_b64 exec, exec, s[4:5]
	s_and_b64 s[0:1], vcc, s[0:1]
	s_and_saveexec_b64 s[4:5], s[0:1]
	s_cbranch_execnz .LBB0_21
.LBB0_19:
	s_endpgm
.LBB0_20:
	v_add_u32_e32 v13, 0x400, v26
	ds_read2_b32 v[22:23], v26 offset1:80
	ds_read2_b32 v[20:21], v26 offset0:160 offset1:240
	ds_read2_b32 v[15:16], v13 offset0:64 offset1:144
	v_add_u32_e32 v13, 0x600, v26
	ds_read2_b32 v[17:18], v13 offset0:96 offset1:176
	v_add_u32_e32 v13, 0x800, v26
	ds_read2_b32 v[13:14], v13 offset0:128 offset1:208
	s_or_b64 exec, exec, s[4:5]
	s_and_b64 s[0:1], vcc, s[0:1]
	s_and_saveexec_b64 s[4:5], s[0:1]
	s_cbranch_execz .LBB0_19
.LBB0_21:
	v_mul_u32_u24_e32 v25, 9, v0
	v_lshlrev_b32_e32 v43, 3, v25
	global_load_dwordx4 v[25:28], v43, s[12:13] offset:512
	global_load_dwordx4 v[29:32], v43, s[12:13] offset:528
	;; [unrolled: 1-line block ×4, first 2 shown]
	global_load_dwordx2 v[41:42], v43, s[12:13] offset:576
	v_mul_lo_u32 v43, s3, v3
	v_mul_lo_u32 v44, s2, v4
	v_mad_u64_u32 v[3:4], s[0:1], s2, v3, 0
	s_mov_b32 s1, 0x3f167918
	s_mov_b32 s3, 0xbf167918
	v_add3_u32 v4, v4, v44, v43
	s_mov_b32 s0, 0x3f737871
	v_lshlrev_b64 v[3:4], 3, v[3:4]
	v_lshlrev_b64 v[1:2], 3, v[1:2]
	s_mov_b32 s2, 0xbf737871
	s_waitcnt vmcnt(4) lgkmcnt(3)
	v_mul_f32_e32 v43, v20, v27
	s_waitcnt vmcnt(3) lgkmcnt(2)
	v_mul_f32_e32 v44, v15, v31
	v_mul_f32_e32 v20, v20, v28
	s_waitcnt vmcnt(1) lgkmcnt(1)
	v_mul_f32_e32 v46, v17, v39
	s_waitcnt lgkmcnt(0)
	v_mul_f32_e32 v45, v13, v35
	v_mul_f32_e32 v15, v15, v32
	;; [unrolled: 1-line block ×5, first 2 shown]
	s_waitcnt vmcnt(0)
	v_mul_f32_e32 v49, v14, v42
	v_mul_f32_e32 v50, v18, v34
	;; [unrolled: 1-line block ×4, first 2 shown]
	v_fmac_f32_e32 v43, v24, v28
	v_fma_f32 v20, v24, v27, -v20
	v_mul_f32_e32 v24, v8, v38
	v_mul_f32_e32 v27, v10, v34
	v_fmac_f32_e32 v44, v7, v32
	v_fmac_f32_e32 v46, v9, v40
	v_mul_f32_e32 v51, v23, v26
	v_mul_f32_e32 v26, v12, v26
	v_fma_f32 v28, v7, v31, -v15
	v_fma_f32 v31, v5, v35, -v13
	v_fma_f32 v32, v8, v37, -v48
	v_fma_f32 v35, v10, v33, -v50
	v_fmac_f32_e32 v30, v21, v29
	v_fmac_f32_e32 v42, v14, v41
	;; [unrolled: 1-line block ×4, first 2 shown]
	v_add_f32_e32 v8, v44, v46
	v_mul_f32_e32 v17, v17, v40
	v_fmac_f32_e32 v45, v5, v36
	v_fma_f32 v36, v12, v25, -v51
	v_fmac_f32_e32 v26, v23, v25
	v_add_f32_e32 v13, v32, v35
	v_sub_f32_e32 v16, v30, v24
	v_sub_f32_e32 v18, v42, v27
	v_add_f32_e32 v25, v24, v27
	v_fma_f32 v38, -0.5, v8, v22
	v_fma_f32 v17, v9, v39, -v17
	v_sub_f32_e32 v9, v20, v31
	v_fma_f32 v39, -0.5, v13, v36
	v_add_f32_e32 v13, v16, v18
	v_fma_f32 v16, -0.5, v25, v26
	v_mov_b32_e32 v25, v38
	v_fma_f32 v34, v6, v41, -v49
	v_sub_f32_e32 v5, v43, v44
	v_sub_f32_e32 v6, v45, v46
	;; [unrolled: 1-line block ×3, first 2 shown]
	v_fmac_f32_e32 v25, 0x3f737871, v9
	v_fmac_f32_e32 v38, 0xbf737871, v9
	v_add_f32_e32 v5, v5, v6
	v_fmac_f32_e32 v25, 0x3f167918, v7
	v_fmac_f32_e32 v38, 0xbf167918, v7
	v_fmac_f32_e32 v25, 0x3e9e377a, v5
	v_fmac_f32_e32 v38, 0x3e9e377a, v5
	v_add_f32_e32 v5, v22, v43
	v_fma_f32 v19, v19, v29, -v47
	v_add_f32_e32 v5, v5, v44
	v_add_f32_e32 v37, v43, v45
	v_sub_f32_e32 v8, v32, v19
	v_sub_f32_e32 v41, v35, v34
	v_add_f32_e32 v5, v5, v46
	v_sub_f32_e32 v10, v19, v32
	v_sub_f32_e32 v12, v34, v35
	;; [unrolled: 1-line block ×4, first 2 shown]
	v_fma_f32 v18, -0.5, v37, v22
	v_add_f32_e32 v41, v8, v41
	v_add_f32_e32 v8, v19, v34
	;; [unrolled: 1-line block ×4, first 2 shown]
	v_sub_f32_e32 v14, v30, v42
	v_sub_f32_e32 v23, v19, v34
	v_add_f32_e32 v12, v10, v12
	v_add_f32_e32 v10, v29, v33
	v_mov_b32_e32 v29, v39
	v_mov_b32_e32 v33, v16
	v_fma_f32 v47, -0.5, v8, v36
	v_sub_f32_e32 v8, v24, v30
	v_sub_f32_e32 v49, v27, v42
	v_add_f32_e32 v5, v24, v5
	v_sub_f32_e32 v15, v24, v27
	v_sub_f32_e32 v21, v32, v35
	v_fmac_f32_e32 v29, 0xbf737871, v14
	v_fmac_f32_e32 v33, 0x3f737871, v23
	v_mov_b32_e32 v40, v18
	v_add_f32_e32 v49, v8, v49
	v_add_f32_e32 v8, v30, v42
	v_fmac_f32_e32 v39, 0x3f737871, v14
	v_add_f32_e32 v5, v27, v5
	v_fmac_f32_e32 v29, 0xbf167918, v15
	v_fmac_f32_e32 v33, 0x3f167918, v21
	;; [unrolled: 1-line block ×3, first 2 shown]
	v_mov_b32_e32 v48, v47
	v_fma_f32 v50, -0.5, v8, v26
	v_fmac_f32_e32 v18, 0x3f737871, v7
	v_fmac_f32_e32 v39, 0x3f167918, v15
	v_add_f32_e32 v26, v42, v5
	v_sub_f32_e32 v5, v20, v28
	v_sub_f32_e32 v7, v31, v17
	v_fmac_f32_e32 v29, 0x3e9e377a, v12
	v_fmac_f32_e32 v33, 0x3e9e377a, v13
	;; [unrolled: 1-line block ×4, first 2 shown]
	v_mov_b32_e32 v51, v50
	v_fmac_f32_e32 v18, 0xbf167918, v9
	v_fmac_f32_e32 v39, 0x3e9e377a, v12
	v_add_f32_e32 v12, v5, v7
	v_add_f32_e32 v5, v28, v17
	v_sub_f32_e32 v7, v28, v20
	v_sub_f32_e32 v9, v17, v31
	v_mul_f32_e32 v6, 0x3f4f1bbd, v33
	v_fmac_f32_e32 v48, 0xbf167918, v14
	v_fmac_f32_e32 v51, 0xbf737871, v21
	v_fma_f32 v30, -0.5, v5, v11
	v_mul_f32_e32 v5, 0x3f4f1bbd, v29
	v_add_f32_e32 v9, v7, v9
	v_add_f32_e32 v7, v20, v31
	v_fma_f32 v37, v29, s3, -v6
	v_fmac_f32_e32 v48, 0x3e9e377a, v41
	v_fmac_f32_e32 v51, 0x3f167918, v23
	v_fma_f32 v29, v33, s1, -v5
	v_fma_f32 v33, -0.5, v7, v11
	v_add_f32_e32 v11, v11, v20
	v_fmac_f32_e32 v51, 0x3e9e377a, v49
	v_fmac_f32_e32 v47, 0xbf737871, v15
	;; [unrolled: 1-line block ×3, first 2 shown]
	v_mul_f32_e32 v7, 0x3e9e377a, v48
	v_add_f32_e32 v11, v11, v28
	v_sub_f32_e32 v6, v25, v37
	v_fmac_f32_e32 v50, 0x3f737871, v21
	v_fmac_f32_e32 v47, 0x3f167918, v14
	;; [unrolled: 1-line block ×3, first 2 shown]
	v_sub_f32_e32 v14, v43, v45
	v_sub_f32_e32 v21, v44, v46
	v_fma_f32 v44, v51, s0, -v7
	v_add_f32_e32 v11, v11, v17
	v_add_f32_e32 v17, v25, v37
	v_mad_u64_u32 v[24:25], s[0:1], s20, v0, 0
	v_fmac_f32_e32 v16, 0x3e9e377a, v13
	v_mov_b32_e32 v42, v30
	v_fmac_f32_e32 v30, 0x3f737871, v14
	v_add_f32_e32 v28, v31, v11
	v_add_f32_e32 v11, v19, v36
	v_fmac_f32_e32 v42, 0xbf737871, v14
	v_fmac_f32_e32 v30, 0x3f167918, v21
	v_mul_f32_e32 v46, 0x3f167918, v16
	v_add_f32_e32 v11, v32, v11
	v_fmac_f32_e32 v42, 0xbf167918, v21
	v_fmac_f32_e32 v30, 0x3e9e377a, v12
	;; [unrolled: 1-line block ×3, first 2 shown]
	v_add_f32_e32 v11, v35, v11
	v_fmac_f32_e32 v42, 0x3e9e377a, v12
	v_mov_b32_e32 v43, v33
	v_sub_f32_e32 v12, v30, v46
	v_add_f32_e32 v31, v34, v11
	v_mov_b32_e32 v11, v25
	v_fmac_f32_e32 v50, 0xbf167918, v23
	v_mul_f32_e32 v23, 0xbf167918, v39
	v_sub_f32_e32 v15, v22, v26
	v_fmac_f32_e32 v43, 0x3f737871, v21
	v_fmac_f32_e32 v33, 0xbf737871, v21
	v_add_f32_e32 v27, v22, v26
	v_mad_u64_u32 v[25:26], s[0:1], s21, v0, v[11:12]
	v_fmac_f32_e32 v23, 0x3f4f1bbd, v16
	v_sub_f32_e32 v5, v42, v29
	v_fmac_f32_e32 v43, 0xbf167918, v14
	v_fmac_f32_e32 v33, 0x3f167918, v14
	v_sub_f32_e32 v14, v28, v31
	v_add_f32_e32 v16, v42, v29
	v_add_f32_e32 v26, v28, v31
	v_mov_b32_e32 v11, s11
	v_add_co_u32_e32 v28, vcc, s10, v3
	v_add_u32_e32 v29, 0x50, v0
	v_addc_co_u32_e32 v11, vcc, v11, v4, vcc
	v_mad_u64_u32 v[3:4], s[0:1], s20, v29, 0
	v_add_co_u32_e32 v28, vcc, v28, v1
	v_add_f32_e32 v22, v30, v46
	v_addc_co_u32_e32 v30, vcc, v11, v2, vcc
	v_lshlrev_b64 v[1:2], 3, v[24:25]
	v_mad_u64_u32 v[24:25], s[0:1], s21, v29, v[4:5]
	v_add_co_u32_e32 v1, vcc, v28, v1
	v_addc_co_u32_e32 v2, vcc, v30, v2, vcc
	v_mov_b32_e32 v4, v24
	v_add_u32_e32 v11, 0xa0, v0
	global_store_dwordx2 v[1:2], v[26:27], off
	v_lshlrev_b64 v[1:2], 3, v[3:4]
	v_mad_u64_u32 v[3:4], s[0:1], s20, v11, 0
	v_add_co_u32_e32 v1, vcc, v28, v1
	v_mad_u64_u32 v[24:25], s[0:1], s21, v11, v[4:5]
	v_add_u32_e32 v11, 0xf0, v0
	v_mad_u64_u32 v[25:26], s[0:1], s20, v11, 0
	v_sub_f32_e32 v13, v38, v23
	v_add_f32_e32 v23, v38, v23
	v_addc_co_u32_e32 v2, vcc, v30, v2, vcc
	v_mov_b32_e32 v4, v24
	global_store_dwordx2 v[1:2], v[22:23], off
	v_lshlrev_b64 v[1:2], 3, v[3:4]
	v_mov_b32_e32 v3, v26
	v_mad_u64_u32 v[3:4], s[0:1], s21, v11, v[3:4]
	v_add_u32_e32 v11, 0x140, v0
	v_fmac_f32_e32 v50, 0x3e9e377a, v49
	v_fmac_f32_e32 v47, 0x3e9e377a, v41
	v_mov_b32_e32 v26, v3
	v_mad_u64_u32 v[3:4], s[0:1], s20, v11, 0
	v_mul_f32_e32 v41, 0xbf737871, v47
	v_mul_f32_e32 v45, 0x3f737871, v50
	v_fmac_f32_e32 v18, 0x3e9e377a, v10
	v_fmac_f32_e32 v41, 0x3e9e377a, v50
	;; [unrolled: 1-line block ×4, first 2 shown]
	v_add_co_u32_e32 v1, vcc, v28, v1
	v_add_f32_e32 v21, v18, v41
	v_add_f32_e32 v20, v33, v45
	v_addc_co_u32_e32 v2, vcc, v30, v2, vcc
	global_store_dwordx2 v[1:2], v[20:21], off
	v_mad_u64_u32 v[20:21], s[0:1], s21, v11, v[4:5]
	v_add_u32_e32 v11, 0x190, v0
	v_lshlrev_b64 v[1:2], 3, v[25:26]
	v_mad_u64_u32 v[21:22], s[0:1], s20, v11, 0
	v_mul_f32_e32 v8, 0x3e9e377a, v51
	v_fmac_f32_e32 v40, 0x3e9e377a, v10
	v_fma_f32 v52, v48, s2, -v8
	v_fmac_f32_e32 v43, 0x3e9e377a, v9
	v_add_co_u32_e32 v1, vcc, v28, v1
	v_sub_f32_e32 v10, v18, v41
	v_add_f32_e32 v19, v40, v52
	v_add_f32_e32 v18, v43, v44
	v_addc_co_u32_e32 v2, vcc, v30, v2, vcc
	v_mov_b32_e32 v4, v20
	global_store_dwordx2 v[1:2], v[18:19], off
	v_lshlrev_b64 v[1:2], 3, v[3:4]
	v_mov_b32_e32 v3, v22
	v_mad_u64_u32 v[3:4], s[0:1], s21, v11, v[3:4]
	v_add_u32_e32 v11, 0x1e0, v0
	v_add_co_u32_e32 v1, vcc, v28, v1
	v_mov_b32_e32 v22, v3
	v_mad_u64_u32 v[3:4], s[0:1], s20, v11, 0
	v_addc_co_u32_e32 v2, vcc, v30, v2, vcc
	global_store_dwordx2 v[1:2], v[16:17], off
	v_mad_u64_u32 v[16:17], s[0:1], s21, v11, v[4:5]
	v_add_u32_e32 v11, 0x230, v0
	v_lshlrev_b64 v[1:2], 3, v[21:22]
	v_mad_u64_u32 v[17:18], s[0:1], s20, v11, 0
	v_add_co_u32_e32 v1, vcc, v28, v1
	v_addc_co_u32_e32 v2, vcc, v30, v2, vcc
	v_mov_b32_e32 v4, v16
	global_store_dwordx2 v[1:2], v[14:15], off
	v_lshlrev_b64 v[1:2], 3, v[3:4]
	v_mov_b32_e32 v3, v18
	v_mad_u64_u32 v[3:4], s[0:1], s21, v11, v[3:4]
	v_or_b32_e32 v11, 0x280, v0
	v_add_co_u32_e32 v1, vcc, v28, v1
	v_mov_b32_e32 v18, v3
	v_mad_u64_u32 v[3:4], s[0:1], s20, v11, 0
	v_addc_co_u32_e32 v2, vcc, v30, v2, vcc
	global_store_dwordx2 v[1:2], v[12:13], off
	v_mad_u64_u32 v[11:12], s[0:1], s21, v11, v[4:5]
	v_add_u32_e32 v14, 0x2d0, v0
	v_lshlrev_b64 v[1:2], 3, v[17:18]
	v_mad_u64_u32 v[12:13], s[0:1], s20, v14, 0
	v_add_co_u32_e32 v1, vcc, v28, v1
	v_sub_f32_e32 v9, v33, v45
	v_addc_co_u32_e32 v2, vcc, v30, v2, vcc
	global_store_dwordx2 v[1:2], v[9:10], off
	v_mov_b32_e32 v4, v11
	v_mov_b32_e32 v2, v13
	v_lshlrev_b64 v[0:1], 3, v[3:4]
	v_mad_u64_u32 v[2:3], s[0:1], s21, v14, v[2:3]
	v_add_co_u32_e32 v0, vcc, v28, v0
	v_sub_f32_e32 v8, v40, v52
	v_sub_f32_e32 v7, v43, v44
	v_addc_co_u32_e32 v1, vcc, v30, v1, vcc
	v_mov_b32_e32 v13, v2
	global_store_dwordx2 v[0:1], v[7:8], off
	v_lshlrev_b64 v[0:1], 3, v[12:13]
	v_add_co_u32_e32 v0, vcc, v28, v0
	v_addc_co_u32_e32 v1, vcc, v30, v1, vcc
	global_store_dwordx2 v[0:1], v[5:6], off
	s_endpgm
	.section	.rodata,"a",@progbits
	.p2align	6, 0x0
	.amdhsa_kernel fft_rtc_fwd_len800_factors_16_5_10_wgs_160_tpt_160_halfLds_sp_op_CI_CI_sbrr_dirReg
		.amdhsa_group_segment_fixed_size 0
		.amdhsa_private_segment_fixed_size 0
		.amdhsa_kernarg_size 104
		.amdhsa_user_sgpr_count 6
		.amdhsa_user_sgpr_private_segment_buffer 1
		.amdhsa_user_sgpr_dispatch_ptr 0
		.amdhsa_user_sgpr_queue_ptr 0
		.amdhsa_user_sgpr_kernarg_segment_ptr 1
		.amdhsa_user_sgpr_dispatch_id 0
		.amdhsa_user_sgpr_flat_scratch_init 0
		.amdhsa_user_sgpr_private_segment_size 0
		.amdhsa_uses_dynamic_stack 0
		.amdhsa_system_sgpr_private_segment_wavefront_offset 0
		.amdhsa_system_sgpr_workgroup_id_x 1
		.amdhsa_system_sgpr_workgroup_id_y 0
		.amdhsa_system_sgpr_workgroup_id_z 0
		.amdhsa_system_sgpr_workgroup_info 0
		.amdhsa_system_vgpr_workitem_id 0
		.amdhsa_next_free_vgpr 64
		.amdhsa_next_free_sgpr 32
		.amdhsa_reserve_vcc 1
		.amdhsa_reserve_flat_scratch 0
		.amdhsa_float_round_mode_32 0
		.amdhsa_float_round_mode_16_64 0
		.amdhsa_float_denorm_mode_32 3
		.amdhsa_float_denorm_mode_16_64 3
		.amdhsa_dx10_clamp 1
		.amdhsa_ieee_mode 1
		.amdhsa_fp16_overflow 0
		.amdhsa_exception_fp_ieee_invalid_op 0
		.amdhsa_exception_fp_denorm_src 0
		.amdhsa_exception_fp_ieee_div_zero 0
		.amdhsa_exception_fp_ieee_overflow 0
		.amdhsa_exception_fp_ieee_underflow 0
		.amdhsa_exception_fp_ieee_inexact 0
		.amdhsa_exception_int_div_zero 0
	.end_amdhsa_kernel
	.text
.Lfunc_end0:
	.size	fft_rtc_fwd_len800_factors_16_5_10_wgs_160_tpt_160_halfLds_sp_op_CI_CI_sbrr_dirReg, .Lfunc_end0-fft_rtc_fwd_len800_factors_16_5_10_wgs_160_tpt_160_halfLds_sp_op_CI_CI_sbrr_dirReg
                                        ; -- End function
	.section	.AMDGPU.csdata,"",@progbits
; Kernel info:
; codeLenInByte = 6188
; NumSgprs: 36
; NumVgprs: 64
; ScratchSize: 0
; MemoryBound: 0
; FloatMode: 240
; IeeeMode: 1
; LDSByteSize: 0 bytes/workgroup (compile time only)
; SGPRBlocks: 4
; VGPRBlocks: 15
; NumSGPRsForWavesPerEU: 36
; NumVGPRsForWavesPerEU: 64
; Occupancy: 4
; WaveLimiterHint : 1
; COMPUTE_PGM_RSRC2:SCRATCH_EN: 0
; COMPUTE_PGM_RSRC2:USER_SGPR: 6
; COMPUTE_PGM_RSRC2:TRAP_HANDLER: 0
; COMPUTE_PGM_RSRC2:TGID_X_EN: 1
; COMPUTE_PGM_RSRC2:TGID_Y_EN: 0
; COMPUTE_PGM_RSRC2:TGID_Z_EN: 0
; COMPUTE_PGM_RSRC2:TIDIG_COMP_CNT: 0
	.type	__hip_cuid_8c3afe6a3135507d,@object ; @__hip_cuid_8c3afe6a3135507d
	.section	.bss,"aw",@nobits
	.globl	__hip_cuid_8c3afe6a3135507d
__hip_cuid_8c3afe6a3135507d:
	.byte	0                               ; 0x0
	.size	__hip_cuid_8c3afe6a3135507d, 1

	.ident	"AMD clang version 19.0.0git (https://github.com/RadeonOpenCompute/llvm-project roc-6.4.0 25133 c7fe45cf4b819c5991fe208aaa96edf142730f1d)"
	.section	".note.GNU-stack","",@progbits
	.addrsig
	.addrsig_sym __hip_cuid_8c3afe6a3135507d
	.amdgpu_metadata
---
amdhsa.kernels:
  - .args:
      - .actual_access:  read_only
        .address_space:  global
        .offset:         0
        .size:           8
        .value_kind:     global_buffer
      - .offset:         8
        .size:           8
        .value_kind:     by_value
      - .actual_access:  read_only
        .address_space:  global
        .offset:         16
        .size:           8
        .value_kind:     global_buffer
      - .actual_access:  read_only
        .address_space:  global
        .offset:         24
        .size:           8
        .value_kind:     global_buffer
      - .actual_access:  read_only
        .address_space:  global
        .offset:         32
        .size:           8
        .value_kind:     global_buffer
      - .offset:         40
        .size:           8
        .value_kind:     by_value
      - .actual_access:  read_only
        .address_space:  global
        .offset:         48
        .size:           8
        .value_kind:     global_buffer
      - .actual_access:  read_only
        .address_space:  global
        .offset:         56
        .size:           8
        .value_kind:     global_buffer
      - .offset:         64
        .size:           4
        .value_kind:     by_value
      - .actual_access:  read_only
        .address_space:  global
        .offset:         72
        .size:           8
        .value_kind:     global_buffer
      - .actual_access:  read_only
        .address_space:  global
        .offset:         80
        .size:           8
        .value_kind:     global_buffer
      - .actual_access:  read_only
        .address_space:  global
        .offset:         88
        .size:           8
        .value_kind:     global_buffer
      - .actual_access:  write_only
        .address_space:  global
        .offset:         96
        .size:           8
        .value_kind:     global_buffer
    .group_segment_fixed_size: 0
    .kernarg_segment_align: 8
    .kernarg_segment_size: 104
    .language:       OpenCL C
    .language_version:
      - 2
      - 0
    .max_flat_workgroup_size: 160
    .name:           fft_rtc_fwd_len800_factors_16_5_10_wgs_160_tpt_160_halfLds_sp_op_CI_CI_sbrr_dirReg
    .private_segment_fixed_size: 0
    .sgpr_count:     36
    .sgpr_spill_count: 0
    .symbol:         fft_rtc_fwd_len800_factors_16_5_10_wgs_160_tpt_160_halfLds_sp_op_CI_CI_sbrr_dirReg.kd
    .uniform_work_group_size: 1
    .uses_dynamic_stack: false
    .vgpr_count:     64
    .vgpr_spill_count: 0
    .wavefront_size: 64
amdhsa.target:   amdgcn-amd-amdhsa--gfx906
amdhsa.version:
  - 1
  - 2
...

	.end_amdgpu_metadata
